;; amdgpu-corpus repo=zjin-lcf/HeCBench kind=compiled arch=gfx906 opt=O3
	.amdgcn_target "amdgcn-amd-amdhsa--gfx906"
	.amdhsa_code_object_version 6
	.text
	.protected	_Z11setupKernelPj       ; -- Begin function _Z11setupKernelPj
	.globl	_Z11setupKernelPj
	.p2align	8
	.type	_Z11setupKernelPj,@function
_Z11setupKernelPj:                      ; @_Z11setupKernelPj
; %bb.0:
	s_load_dword s2, s[4:5], 0x14
	s_load_dwordx2 s[0:1], s[4:5], 0x0
	s_waitcnt lgkmcnt(0)
	s_and_b32 s2, s2, 0xffff
	s_mul_i32 s6, s6, s2
	v_add_u32_e32 v0, s6, v0
	v_ashrrev_i32_e32 v1, 31, v0
	v_lshlrev_b64 v[1:2], 2, v[0:1]
	v_mov_b32_e32 v3, s1
	v_add_co_u32_e32 v1, vcc, s0, v1
	v_addc_co_u32_e32 v2, vcc, v3, v2, vcc
	v_cmp_lt_i32_e32 vcc, 0, v0
	global_store_dword v[1:2], v0, off
	s_and_saveexec_b64 s[0:1], vcc
	s_cbranch_execz .LBB0_4
; %bb.1:
	s_mov_b64 s[0:1], 0
	s_mov_b32 s2, 0x1984a2d
	v_mov_b32_e32 v3, v0
.LBB0_2:                                ; =>This Inner Loop Header: Depth=1
	v_mad_u64_u32 v[3:4], s[4:5], v3, s2, 1
	v_add_u32_e32 v0, -1, v0
	v_cmp_eq_u32_e32 vcc, 0, v0
	s_or_b64 s[0:1], vcc, s[0:1]
	v_and_b32_e32 v3, 0x7fffffff, v3
	s_andn2_b64 exec, exec, s[0:1]
	s_cbranch_execnz .LBB0_2
; %bb.3:
	s_or_b64 exec, exec, s[0:1]
	global_store_dword v[1:2], v3, off
.LBB0_4:
	s_endpgm
	.section	.rodata,"a",@progbits
	.p2align	6, 0x0
	.amdhsa_kernel _Z11setupKernelPj
		.amdhsa_group_segment_fixed_size 0
		.amdhsa_private_segment_fixed_size 0
		.amdhsa_kernarg_size 264
		.amdhsa_user_sgpr_count 6
		.amdhsa_user_sgpr_private_segment_buffer 1
		.amdhsa_user_sgpr_dispatch_ptr 0
		.amdhsa_user_sgpr_queue_ptr 0
		.amdhsa_user_sgpr_kernarg_segment_ptr 1
		.amdhsa_user_sgpr_dispatch_id 0
		.amdhsa_user_sgpr_flat_scratch_init 0
		.amdhsa_user_sgpr_private_segment_size 0
		.amdhsa_uses_dynamic_stack 0
		.amdhsa_system_sgpr_private_segment_wavefront_offset 0
		.amdhsa_system_sgpr_workgroup_id_x 1
		.amdhsa_system_sgpr_workgroup_id_y 0
		.amdhsa_system_sgpr_workgroup_id_z 0
		.amdhsa_system_sgpr_workgroup_info 0
		.amdhsa_system_vgpr_workitem_id 0
		.amdhsa_next_free_vgpr 5
		.amdhsa_next_free_sgpr 7
		.amdhsa_reserve_vcc 1
		.amdhsa_reserve_flat_scratch 0
		.amdhsa_float_round_mode_32 0
		.amdhsa_float_round_mode_16_64 0
		.amdhsa_float_denorm_mode_32 3
		.amdhsa_float_denorm_mode_16_64 3
		.amdhsa_dx10_clamp 1
		.amdhsa_ieee_mode 1
		.amdhsa_fp16_overflow 0
		.amdhsa_exception_fp_ieee_invalid_op 0
		.amdhsa_exception_fp_denorm_src 0
		.amdhsa_exception_fp_ieee_div_zero 0
		.amdhsa_exception_fp_ieee_overflow 0
		.amdhsa_exception_fp_ieee_underflow 0
		.amdhsa_exception_fp_ieee_inexact 0
		.amdhsa_exception_int_div_zero 0
	.end_amdhsa_kernel
	.text
.Lfunc_end0:
	.size	_Z11setupKernelPj, .Lfunc_end0-_Z11setupKernelPj
                                        ; -- End function
	.set _Z11setupKernelPj.num_vgpr, 5
	.set _Z11setupKernelPj.num_agpr, 0
	.set _Z11setupKernelPj.numbered_sgpr, 7
	.set _Z11setupKernelPj.num_named_barrier, 0
	.set _Z11setupKernelPj.private_seg_size, 0
	.set _Z11setupKernelPj.uses_vcc, 1
	.set _Z11setupKernelPj.uses_flat_scratch, 0
	.set _Z11setupKernelPj.has_dyn_sized_stack, 0
	.set _Z11setupKernelPj.has_recursion, 0
	.set _Z11setupKernelPj.has_indirect_call, 0
	.section	.AMDGPU.csdata,"",@progbits
; Kernel info:
; codeLenInByte = 148
; TotalNumSgprs: 11
; NumVgprs: 5
; ScratchSize: 0
; MemoryBound: 0
; FloatMode: 240
; IeeeMode: 1
; LDSByteSize: 0 bytes/workgroup (compile time only)
; SGPRBlocks: 1
; VGPRBlocks: 1
; NumSGPRsForWavesPerEU: 11
; NumVGPRsForWavesPerEU: 5
; Occupancy: 10
; WaveLimiterHint : 0
; COMPUTE_PGM_RSRC2:SCRATCH_EN: 0
; COMPUTE_PGM_RSRC2:USER_SGPR: 6
; COMPUTE_PGM_RSRC2:TRAP_HANDLER: 0
; COMPUTE_PGM_RSRC2:TGID_X_EN: 1
; COMPUTE_PGM_RSRC2:TGID_Y_EN: 0
; COMPUTE_PGM_RSRC2:TGID_Z_EN: 0
; COMPUTE_PGM_RSRC2:TIDIG_COMP_CNT: 0
	.text
	.protected	_Z6decodePKfPKiPKjPi    ; -- Begin function _Z6decodePKfPKiPKjPi
	.globl	_Z6decodePKfPKiPKjPi
	.p2align	8
	.type	_Z6decodePKfPKiPKjPi,@function
_Z6decodePKfPKiPKjPi:                   ; @_Z6decodePKfPKiPKjPi
; %bb.0:
	s_add_u32 s0, s0, s7
	s_load_dword s7, s[4:5], 0x2c
	s_load_dwordx2 s[8:9], s[4:5], 0x10
	s_addc_u32 s1, s1, 0
	s_waitcnt lgkmcnt(0)
	s_and_b32 s7, s7, 0xffff
	s_mul_i32 s6, s6, s7
	v_add_u32_e32 v4, s6, v0
	v_mov_b32_e32 v1, v4
	s_mov_b32 s6, 0x53700
	v_ashrrev_i32_e32 v5, 31, v4
	buffer_store_dword v1, off, s[0:3], s6  ; 4-byte Folded Spill
	s_nop 0
	buffer_store_dword v2, off, s[0:3], s6 offset:4 ; 4-byte Folded Spill
	v_lshlrev_b64 v[1:2], 2, v[4:5]
	v_mov_b32_e32 v3, s9
	v_add_co_u32_e32 v1, vcc, s8, v1
	v_addc_co_u32_e32 v2, vcc, v3, v2, vcc
	global_load_dword v2, v[1:2], off
	v_cmp_eq_u32_e32 vcc, 0, v0
	s_and_saveexec_b64 s[6:7], vcc
	s_cbranch_execz .LBB1_2
; %bb.1:
	s_load_dwordx2 s[24:25], s[4:5], 0x0
	v_mov_b32_e32 v0, 0
	s_waitcnt lgkmcnt(0)
	s_load_dwordx16 s[8:23], s[24:25], 0x0
	s_waitcnt lgkmcnt(0)
	v_mov_b32_e32 v3, s8
	v_mov_b32_e32 v4, s9
	;; [unrolled: 1-line block ×8, first 2 shown]
	ds_write_b128 v0, v[3:6]
	ds_write_b128 v0, v[7:10] offset:16
	s_load_dwordx16 s[36:51], s[24:25], 0x40
	v_mov_b32_e32 v3, s16
	v_mov_b32_e32 v4, s17
	v_mov_b32_e32 v5, s18
	v_mov_b32_e32 v6, s19
	ds_write_b128 v0, v[3:6] offset:32
	v_mov_b32_e32 v3, s20
	v_mov_b32_e32 v4, s21
	v_mov_b32_e32 v5, s22
	v_mov_b32_e32 v6, s23
	s_load_dwordx16 s[8:23], s[24:25], 0x80
	ds_write_b128 v0, v[3:6] offset:48
	s_waitcnt lgkmcnt(0)
	v_mov_b32_e32 v3, s36
	v_mov_b32_e32 v4, s37
	v_mov_b32_e32 v5, s38
	v_mov_b32_e32 v6, s39
	ds_write_b128 v0, v[3:6] offset:64
	v_mov_b32_e32 v3, s40
	v_mov_b32_e32 v4, s41
	v_mov_b32_e32 v5, s42
	v_mov_b32_e32 v6, s43
	ds_write_b128 v0, v[3:6] offset:80
	v_mov_b32_e32 v3, s44
	v_mov_b32_e32 v4, s45
	v_mov_b32_e32 v5, s46
	v_mov_b32_e32 v6, s47
	ds_write_b128 v0, v[3:6] offset:96
	v_mov_b32_e32 v3, s48
	v_mov_b32_e32 v4, s49
	v_mov_b32_e32 v5, s50
	v_mov_b32_e32 v6, s51
	s_load_dwordx16 s[36:51], s[24:25], 0xc0
	ds_write_b128 v0, v[3:6] offset:112
	v_mov_b32_e32 v3, s8
	v_mov_b32_e32 v4, s9
	v_mov_b32_e32 v5, s10
	v_mov_b32_e32 v6, s11
	ds_write_b128 v0, v[3:6] offset:128
	v_mov_b32_e32 v3, s12
	v_mov_b32_e32 v4, s13
	v_mov_b32_e32 v5, s14
	v_mov_b32_e32 v6, s15
	ds_write_b128 v0, v[3:6] offset:144
	v_mov_b32_e32 v3, s16
	v_mov_b32_e32 v4, s17
	v_mov_b32_e32 v5, s18
	v_mov_b32_e32 v6, s19
	ds_write_b128 v0, v[3:6] offset:160
	v_mov_b32_e32 v3, s20
	v_mov_b32_e32 v4, s21
	v_mov_b32_e32 v5, s22
	v_mov_b32_e32 v6, s23
	s_load_dwordx16 s[8:23], s[24:25], 0x100
	ds_write_b128 v0, v[3:6] offset:176
	s_waitcnt lgkmcnt(0)
	v_mov_b32_e32 v3, s36
	v_mov_b32_e32 v4, s37
	v_mov_b32_e32 v5, s38
	v_mov_b32_e32 v6, s39
	ds_write_b128 v0, v[3:6] offset:192
	v_mov_b32_e32 v3, s40
	v_mov_b32_e32 v4, s41
	v_mov_b32_e32 v5, s42
	v_mov_b32_e32 v6, s43
	ds_write_b128 v0, v[3:6] offset:208
	v_mov_b32_e32 v3, s44
	v_mov_b32_e32 v4, s45
	v_mov_b32_e32 v5, s46
	v_mov_b32_e32 v6, s47
	ds_write_b128 v0, v[3:6] offset:224
	v_mov_b32_e32 v3, s48
	v_mov_b32_e32 v4, s49
	v_mov_b32_e32 v5, s50
	v_mov_b32_e32 v6, s51
	s_load_dwordx16 s[36:51], s[24:25], 0x140
	ds_write_b128 v0, v[3:6] offset:240
	v_mov_b32_e32 v3, s8
	v_mov_b32_e32 v4, s9
	v_mov_b32_e32 v5, s10
	v_mov_b32_e32 v6, s11
	ds_write_b128 v0, v[3:6] offset:256
	v_mov_b32_e32 v3, s12
	v_mov_b32_e32 v4, s13
	v_mov_b32_e32 v5, s14
	v_mov_b32_e32 v6, s15
	ds_write_b128 v0, v[3:6] offset:272
	;; [unrolled: 43-line block ×20, first 2 shown]
	v_mov_b32_e32 v3, s16
	v_mov_b32_e32 v4, s17
	;; [unrolled: 1-line block ×4, first 2 shown]
	ds_write_b128 v0, v[3:6] offset:2592
	v_mov_b32_e32 v3, s20
	v_mov_b32_e32 v4, s21
	;; [unrolled: 1-line block ×4, first 2 shown]
	s_load_dwordx4 s[8:11], s[24:25], 0xa80
	ds_write_b128 v0, v[3:6] offset:2608
	s_waitcnt lgkmcnt(0)
	v_mov_b32_e32 v3, s36
	v_mov_b32_e32 v4, s37
	v_mov_b32_e32 v5, s38
	v_mov_b32_e32 v6, s39
	ds_write_b128 v0, v[3:6] offset:2624
	v_mov_b32_e32 v3, s40
	v_mov_b32_e32 v4, s41
	v_mov_b32_e32 v5, s42
	v_mov_b32_e32 v6, s43
	ds_write_b128 v0, v[3:6] offset:2640
	;; [unrolled: 5-line block ×5, first 2 shown]
.LBB1_2:
	s_or_b64 exec, exec, s[6:7]
	v_mov_b32_e32 v1, 1
	s_waitcnt vmcnt(0) lgkmcnt(0)
	s_barrier
	buffer_store_dword v1, off, s[0:3], 0 offset:1828
	v_mov_b32_e32 v1, 2
	buffer_store_dword v1, off, s[0:3], 0 offset:1832
	v_mov_b32_e32 v1, 3
	buffer_store_dword v1, off, s[0:3], 0 offset:1836
	v_mov_b32_e32 v1, 4
	buffer_store_dword v1, off, s[0:3], 0 offset:1840
	v_mov_b32_e32 v1, 5
	buffer_store_dword v1, off, s[0:3], 0 offset:1844
	v_mov_b32_e32 v1, 6
	buffer_store_dword v1, off, s[0:3], 0 offset:1848
	v_mov_b32_e32 v1, 7
	buffer_store_dword v1, off, s[0:3], 0 offset:1852
	v_mov_b32_e32 v1, 8
	buffer_store_dword v1, off, s[0:3], 0 offset:1856
	v_mov_b32_e32 v1, 9
	buffer_store_dword v1, off, s[0:3], 0 offset:1860
	v_mov_b32_e32 v1, 10
	buffer_store_dword v1, off, s[0:3], 0 offset:1864
	v_mov_b32_e32 v1, 11
	buffer_store_dword v1, off, s[0:3], 0 offset:1868
	v_mov_b32_e32 v1, 12
	buffer_store_dword v1, off, s[0:3], 0 offset:1872
	v_mov_b32_e32 v1, 13
	buffer_store_dword v1, off, s[0:3], 0 offset:1876
	v_mov_b32_e32 v1, 14
	buffer_store_dword v1, off, s[0:3], 0 offset:1880
	v_mov_b32_e32 v1, 15
	buffer_store_dword v1, off, s[0:3], 0 offset:1884
	v_mov_b32_e32 v1, 16
	buffer_store_dword v1, off, s[0:3], 0 offset:1888
	v_mov_b32_e32 v1, 17
	buffer_store_dword v1, off, s[0:3], 0 offset:1892
	v_mov_b32_e32 v1, 18
	buffer_store_dword v1, off, s[0:3], 0 offset:1896
	v_mov_b32_e32 v1, 19
	buffer_store_dword v1, off, s[0:3], 0 offset:1900
	v_mov_b32_e32 v1, 20
	buffer_store_dword v1, off, s[0:3], 0 offset:1904
	v_mov_b32_e32 v1, 21
	buffer_store_dword v1, off, s[0:3], 0 offset:1908
	v_mov_b32_e32 v1, 22
	s_mov_b32 s8, 0x1984a2d
	buffer_store_dword v1, off, s[0:3], 0 offset:1912
	v_mov_b32_e32 v1, 23
	v_mad_u64_u32 v[2:3], s[6:7], v2, s8, 1
	buffer_store_dword v1, off, s[0:3], 0 offset:1916
	v_mov_b32_e32 v1, 24
	buffer_store_dword v1, off, s[0:3], 0 offset:1920
	v_mov_b32_e32 v1, 25
	buffer_store_dword v1, off, s[0:3], 0 offset:1924
	v_mov_b32_e32 v1, 26
	buffer_store_dword v1, off, s[0:3], 0 offset:1928
	v_and_b32_e32 v1, 0x7fffffff, v2
	v_cvt_f32_u32_e32 v1, v1
	v_mov_b32_e32 v3, 27
	buffer_store_dword v3, off, s[0:3], 0 offset:1932
	v_mov_b32_e32 v3, 28
	v_mul_f32_e32 v1, 0x30000000, v1
	v_mul_f32_e32 v1, 0x41f00000, v1
	v_cvt_i32_f32_e32 v1, v1
	v_mov_b32_e32 v0, 0
	buffer_store_dword v3, off, s[0:3], 0 offset:1936
	v_mov_b32_e32 v3, 29
	v_cmp_ne_u32_e32 vcc, 0, v1
	buffer_store_dword v0, off, s[0:3], 0 offset:1824
	buffer_store_dword v3, off, s[0:3], 0 offset:1940
	s_and_saveexec_b64 s[6:7], vcc
	s_cbranch_execz .LBB1_4
; %bb.3:
	v_mov_b32_e32 v3, 0x720
	v_lshl_add_u32 v1, v1, 2, v3
	buffer_load_dword v3, v1, s[0:3], 0 offen
	s_nop 0
	buffer_store_dword v0, v1, s[0:3], 0 offen
	s_waitcnt vmcnt(1)
	buffer_store_dword v3, off, s[0:3], 0 offset:1824
.LBB1_4:
	s_or_b64 exec, exec, s[6:7]
	v_mad_u64_u32 v[2:3], s[6:7], v2, s8, 1
	v_and_b32_e32 v0, 0x7fffffff, v2
	v_cvt_f32_u32_e32 v0, v0
	v_mul_f32_e32 v0, 0x30000000, v0
	v_mul_f32_e32 v0, 0x41f00000, v0
	v_cvt_i32_f32_e32 v0, v0
	v_cmp_ne_u32_e32 vcc, 1, v0
	s_and_saveexec_b64 s[6:7], vcc
	s_cbranch_execz .LBB1_6
; %bb.5:
	v_mov_b32_e32 v1, 0x720
	v_lshl_add_u32 v0, v0, 2, v1
	buffer_load_dword v1, v0, s[0:3], 0 offen
	buffer_load_dword v3, off, s[0:3], 0 offset:1828
	s_waitcnt vmcnt(0)
	v_sub_u32_e32 v1, v3, v1
	buffer_store_dword v1, off, s[0:3], 0 offset:1828
	buffer_load_dword v3, v0, s[0:3], 0 offen
	s_waitcnt vmcnt(0)
	v_add_u32_e32 v1, v3, v1
	buffer_store_dword v1, v0, s[0:3], 0 offen
	buffer_load_dword v0, off, s[0:3], 0 offset:1828
	s_waitcnt vmcnt(0)
	v_sub_u32_e32 v0, v1, v0
	buffer_store_dword v0, off, s[0:3], 0 offset:1828
.LBB1_6:
	s_or_b64 exec, exec, s[6:7]
	v_mad_u64_u32 v[2:3], s[6:7], v2, s8, 1
	v_and_b32_e32 v0, 0x7fffffff, v2
	v_cvt_f32_u32_e32 v0, v0
	v_mul_f32_e32 v0, 0x30000000, v0
	v_mul_f32_e32 v0, 0x41f00000, v0
	v_cvt_i32_f32_e32 v0, v0
	v_cmp_ne_u32_e32 vcc, 2, v0
	s_and_saveexec_b64 s[6:7], vcc
	s_cbranch_execz .LBB1_8
; %bb.7:
	v_mov_b32_e32 v1, 0x720
	v_lshl_add_u32 v0, v0, 2, v1
	buffer_load_dword v1, v0, s[0:3], 0 offen
	buffer_load_dword v3, off, s[0:3], 0 offset:1832
	s_waitcnt vmcnt(0)
	v_sub_u32_e32 v1, v3, v1
	buffer_store_dword v1, off, s[0:3], 0 offset:1832
	buffer_load_dword v3, v0, s[0:3], 0 offen
	s_waitcnt vmcnt(0)
	v_add_u32_e32 v1, v3, v1
	buffer_store_dword v1, v0, s[0:3], 0 offen
	buffer_load_dword v0, off, s[0:3], 0 offset:1832
	s_waitcnt vmcnt(0)
	v_sub_u32_e32 v0, v1, v0
	buffer_store_dword v0, off, s[0:3], 0 offset:1832
.LBB1_8:
	;; [unrolled: 27-line block ×28, first 2 shown]
	s_or_b64 exec, exec, s[6:7]
	buffer_load_dword v11, off, s[0:3], 0 offset:1940
	v_mad_u64_u32 v[0:1], s[6:7], v2, s8, 1
	s_load_dwordx2 s[8:9], s[4:5], 0x8
	s_load_dwordx2 s[6:7], s[4:5], 0x18
	v_and_b32_e32 v38, 0x7fffffff, v0
	v_cvt_f32_u32_e32 v0, v38
	v_mul_f32_e32 v0, 0x30000000, v0
	v_mul_f32_e32 v0, 0x41f00000, v0
	v_cvt_i32_f32_e32 v0, v0
	v_cmp_ne_u32_e32 vcc, 29, v0
	s_and_saveexec_b64 s[4:5], vcc
	s_cbranch_execz .LBB1_62
; %bb.61:
	v_mov_b32_e32 v1, 0x720
	v_lshl_add_u32 v0, v0, 2, v1
	buffer_load_dword v1, v0, s[0:3], 0 offen
	s_waitcnt vmcnt(0)
	v_sub_u32_e32 v1, v11, v1
	buffer_store_dword v1, off, s[0:3], 0 offset:1940
	buffer_load_dword v2, v0, s[0:3], 0 offen
	s_waitcnt vmcnt(0)
	v_add_u32_e32 v1, v2, v1
	buffer_store_dword v1, v0, s[0:3], 0 offen
	buffer_load_dword v0, off, s[0:3], 0 offset:1940
	s_waitcnt vmcnt(0)
	v_sub_u32_e32 v11, v1, v0
	buffer_store_dword v11, off, s[0:3], 0 offset:1940
.LBB1_62:
	s_or_b64 exec, exec, s[4:5]
	buffer_load_dword v0, off, s[0:3], 0 offset:1824
	s_mov_b32 s4, 0x52600
	s_mov_b32 s22, 0
	;; [unrolled: 1-line block ×3, first 2 shown]
	s_movk_i32 s24, 0x45
	s_mov_b32 s25, 0x41e00000
	s_mov_b32 s26, 0x84ee0be9
	;; [unrolled: 1-line block ×4, first 2 shown]
	s_movk_i32 s29, 0x68
	s_movk_i32 s30, 0x620
	v_mov_b32_e32 v32, 0x497423f0
	v_mov_b32_e32 v5, 13
	;; [unrolled: 1-line block ×3, first 2 shown]
	s_waitcnt vmcnt(0)
	buffer_store_dword v0, off, s[0:3], s4  ; 4-byte Folded Spill
	buffer_load_dword v0, off, s[0:3], 0 offset:1828
	s_mov_b32 s4, 0x52700
	s_waitcnt vmcnt(0)
	buffer_store_dword v0, off, s[0:3], s4  ; 4-byte Folded Spill
	buffer_load_dword v0, off, s[0:3], 0 offset:1832
	s_mov_b32 s4, 0x52800
	s_waitcnt vmcnt(0)
	buffer_store_dword v0, off, s[0:3], s4  ; 4-byte Folded Spill
	buffer_load_dword v0, off, s[0:3], 0 offset:1836
	s_mov_b32 s4, 0x52900
	s_waitcnt vmcnt(0)
	buffer_store_dword v0, off, s[0:3], s4  ; 4-byte Folded Spill
	buffer_load_dword v0, off, s[0:3], 0 offset:1840
	s_mov_b32 s4, 0x52a00
	s_waitcnt vmcnt(0)
	buffer_store_dword v0, off, s[0:3], s4  ; 4-byte Folded Spill
	buffer_load_dword v0, off, s[0:3], 0 offset:1844
	s_mov_b32 s4, 0x52b00
	s_waitcnt vmcnt(0)
	buffer_store_dword v0, off, s[0:3], s4  ; 4-byte Folded Spill
	buffer_load_dword v0, off, s[0:3], 0 offset:1848
	s_mov_b32 s4, 0x52c00
	s_waitcnt vmcnt(0)
	buffer_store_dword v0, off, s[0:3], s4  ; 4-byte Folded Spill
	buffer_load_dword v0, off, s[0:3], 0 offset:1852
	s_mov_b32 s4, 0x52d00
	s_waitcnt vmcnt(0)
	buffer_store_dword v0, off, s[0:3], s4  ; 4-byte Folded Spill
	buffer_load_dword v0, off, s[0:3], 0 offset:1856
	s_mov_b32 s4, 0x52e00
	s_waitcnt vmcnt(0)
	buffer_store_dword v0, off, s[0:3], s4  ; 4-byte Folded Spill
	buffer_load_dword v0, off, s[0:3], 0 offset:1860
	s_mov_b32 s4, 0x52f00
	s_waitcnt vmcnt(0)
	buffer_store_dword v0, off, s[0:3], s4  ; 4-byte Folded Spill
	buffer_load_dword v0, off, s[0:3], 0 offset:1864
	s_mov_b32 s4, 0x53000
	s_waitcnt vmcnt(0)
	buffer_store_dword v0, off, s[0:3], s4  ; 4-byte Folded Spill
	buffer_load_dword v0, off, s[0:3], 0 offset:1868
	s_mov_b32 s4, 0x53100
	s_waitcnt vmcnt(0)
	buffer_store_dword v0, off, s[0:3], s4  ; 4-byte Folded Spill
	buffer_load_dword v0, off, s[0:3], 0 offset:1872
	s_mov_b32 s4, 0x53200
	s_waitcnt vmcnt(0)
	buffer_store_dword v0, off, s[0:3], s4  ; 4-byte Folded Spill
	buffer_load_dword v0, off, s[0:3], 0 offset:1876
	s_mov_b32 s4, 0x53300
	s_waitcnt vmcnt(0)
	buffer_store_dword v0, off, s[0:3], s4  ; 4-byte Folded Spill
	buffer_load_dword v0, off, s[0:3], 0 offset:1880
	s_mov_b32 s4, 0x53400
	s_waitcnt vmcnt(0)
	buffer_store_dword v0, off, s[0:3], s4  ; 4-byte Folded Spill
	buffer_load_dword v0, off, s[0:3], 0 offset:1884
	s_mov_b32 s4, 0x53500
	s_waitcnt vmcnt(0)
	buffer_store_dword v0, off, s[0:3], s4  ; 4-byte Folded Spill
	buffer_load_dword v0, off, s[0:3], 0 offset:1888
	s_mov_b32 s4, 0x53600
	s_waitcnt vmcnt(0)
	buffer_store_dword v0, off, s[0:3], s4  ; 4-byte Folded Spill
	buffer_load_dword v25, off, s[0:3], 0 offset:1892
	buffer_load_dword v26, off, s[0:3], 0 offset:1896
	;; [unrolled: 1-line block ×12, first 2 shown]
	v_mov_b32_e32 v0, 14
	s_branch .LBB1_65
.LBB1_63:                               ;   in Loop: Header=BB1_65 Depth=1
	s_mov_b32 s10, 0x52600
	buffer_store_dword v39, off, s[0:3], s10 ; 4-byte Folded Spill
	s_mov_b32 s10, 0x52700
	buffer_store_dword v40, off, s[0:3], s10 ; 4-byte Folded Spill
	;; [unrolled: 2-line block ×15, first 2 shown]
	s_mov_b32 s10, 0x53500
	v_mov_b32_e32 v32, v2
	buffer_store_dword v54, off, s[0:3], s10 ; 4-byte Folded Spill
	s_mov_b32 s10, 0x53600
	v_mov_b32_e32 v25, v56
	v_mov_b32_e32 v26, v57
	;; [unrolled: 1-line block ×13, first 2 shown]
	buffer_store_dword v55, off, s[0:3], s10 ; 4-byte Folded Spill
.LBB1_64:                               ;   in Loop: Header=BB1_65 Depth=1
	s_or_b64 exec, exec, s[4:5]
	s_add_i32 s22, s22, 1
	s_cmp_eq_u32 s22, 0x249f0
	s_cbranch_scc1 .LBB1_109
.LBB1_65:                               ; =>This Loop Header: Depth=1
                                        ;     Child Loop BB1_69 Depth 2
                                        ;     Child Loop BB1_75 Depth 2
                                        ;       Child Loop BB1_78 Depth 3
                                        ;     Child Loop BB1_87 Depth 2
                                        ;     Child Loop BB1_93 Depth 2
                                        ;       Child Loop BB1_95 Depth 3
                                        ;     Child Loop BB1_98 Depth 2
                                        ;     Child Loop BB1_101 Depth 2
	;; [unrolled: 1-line block ×3, first 2 shown]
	s_waitcnt vmcnt(20)
	v_mad_u64_u32 v[2:3], s[4:5], v38, s23, 1
                                        ; implicit-def: $vgpr38
	v_and_b32_e32 v3, 0x7fffffff, v2
	v_cvt_f32_u32_e32 v4, v3
	v_mul_f32_e32 v4, 0x30000000, v4
	v_mul_f32_e32 v4, 0x42c80000, v4
	v_cvt_i32_f32_e32 v4, v4
	v_cmp_lt_i32_e32 vcc, 49, v4
	s_and_saveexec_b64 s[4:5], vcc
	s_xor_b64 s[4:5], exec, s[4:5]
	s_cbranch_execz .LBB1_83
; %bb.66:                               ;   in Loop: Header=BB1_65 Depth=1
	v_cmp_lt_u32_e32 vcc, s24, v4
                                        ; implicit-def: $vgpr38
	s_and_saveexec_b64 s[10:11], vcc
	s_xor_b64 s[10:11], exec, s[10:11]
	s_cbranch_execz .LBB1_71
; %bb.67:                               ;   in Loop: Header=BB1_65 Depth=1
	v_mul_lo_u32 v8, v2, s26
	v_mad_u64_u32 v[3:4], s[12:13], v2, s23, 1
	s_mov_b32 s12, 0x52600
	v_add_u32_e32 v4, 0x1984a2e, v8
	v_and_b32_e32 v4, 0x7fffffff, v4
	v_mul_lo_u32 v2, v2, s27
	s_nop 0
	buffer_load_dword v8, off, s[0:3], s12  ; 4-byte Folded Reload
	v_cvt_f32_u32_e32 v4, v4
	v_mov_b32_e32 v12, 0x1420
	s_mov_b32 s12, 0x52700
	v_mov_b32_e32 v13, 0x1420
	v_and_b32_e32 v3, 0x7fffffff, v3
	v_cvt_f32_u32_e32 v3, v3
	v_mul_f32_e32 v3, 0x30000000, v3
	v_fma_f32 v3, v3, s25, 1.0
	s_waitcnt vmcnt(0)
	buffer_store_dword v8, v12, s[0:3], 0 offen
	v_add_u32_e32 v8, 0x86865617, v2
	v_mul_f32_e32 v2, 0x30000000, v4
	v_mul_f32_e32 v2, 0x41e80000, v2
	v_cvt_i32_f32_e32 v2, v2
	v_and_b32_e32 v38, 0x7fffffff, v8
	v_cvt_f32_u32_e32 v4, v38
	v_mov_b32_e32 v12, 0x1420
	v_add_u32_e32 v8, 1, v2
	v_cvt_f32_i32_e32 v8, v8
	v_mul_f32_e32 v4, 0x30000000, v4
	v_fmac_f32_e32 v8, 0x41e00000, v4
	v_cvt_i32_f32_e32 v4, v8
	buffer_load_dword v8, off, s[0:3], s12  ; 4-byte Folded Reload
	s_mov_b32 s12, 0x52800
	s_waitcnt vmcnt(0)
	buffer_store_dword v8, v12, s[0:3], 0 offen offset:4
	buffer_load_dword v8, off, s[0:3], s12  ; 4-byte Folded Reload
	v_mov_b32_e32 v12, 0x1420
	s_mov_b32 s12, 0x52900
	s_waitcnt vmcnt(0)
	buffer_store_dword v8, v12, s[0:3], 0 offen offset:8
	buffer_load_dword v8, off, s[0:3], s12  ; 4-byte Folded Reload
	v_mov_b32_e32 v12, 0x1420
	;; [unrolled: 5-line block ×11, first 2 shown]
	s_mov_b32 s12, 0x53300
	s_waitcnt vmcnt(0)
	buffer_store_dword v8, v12, s[0:3], 0 offen offset:48
	buffer_load_dword v12, off, s[0:3], s12 ; 4-byte Folded Reload
	s_mov_b32 s12, 0x53400
	v_mul_hi_i32 v8, v4, s28
	v_add_u32_e32 v8, v8, v4
	s_waitcnt vmcnt(0)
	buffer_store_dword v12, v13, s[0:3], 0 offen offset:52
	buffer_load_dword v12, off, s[0:3], s12 ; 4-byte Folded Reload
	v_mov_b32_e32 v13, 0x1420
	s_mov_b32 s12, 0x53500
	s_waitcnt vmcnt(0)
	buffer_store_dword v12, v13, s[0:3], 0 offen offset:56
	buffer_load_dword v12, off, s[0:3], s12 ; 4-byte Folded Reload
	v_mov_b32_e32 v13, 0x1420
	s_mov_b32 s12, 0x53600
	s_waitcnt vmcnt(0)
	buffer_store_dword v12, v13, s[0:3], 0 offen offset:60
	v_lshrrev_b32_e32 v12, 31, v8
	v_ashrrev_i32_e32 v8, 4, v8
	v_add_u32_e32 v8, v8, v12
	buffer_load_dword v12, off, s[0:3], s12 ; 4-byte Folded Reload
	v_mul_lo_u32 v8, v8, 30
	v_mov_b32_e32 v13, 0x1420
	v_sub_u32_e32 v4, v4, v8
	v_sub_u32_e32 v4, v4, v2
	v_add_u32_e32 v4, 30, v4
	v_mul_hi_i32 v8, v4, s28
	v_add_u32_e32 v8, v8, v4
	s_waitcnt vmcnt(0)
	buffer_store_dword v12, v13, s[0:3], 0 offen offset:64
	v_mov_b32_e32 v12, 0x1420
	buffer_store_dword v25, v12, s[0:3], 0 offen offset:68
	v_mov_b32_e32 v12, 0x1420
	;; [unrolled: 2-line block ×5, first 2 shown]
	buffer_store_dword v29, v12, s[0:3], 0 offen offset:84
	v_lshrrev_b32_e32 v12, 31, v8
	v_ashrrev_i32_e32 v8, 4, v8
	v_add_u32_e32 v8, v8, v12
	v_mul_lo_u32 v8, v8, 30
	v_cvt_i32_f32_e32 v12, v3
	v_mov_b32_e32 v3, 0x1420
	buffer_store_dword v30, v3, s[0:3], 0 offen offset:88
	v_mov_b32_e32 v3, 0x1420
	buffer_store_dword v31, v3, s[0:3], 0 offen offset:92
	v_sub_u32_e32 v3, v4, v8
	v_add_u32_e32 v4, v3, v12
	v_mul_hi_i32 v8, v4, s28
	v_mov_b32_e32 v12, 0x1420
	buffer_store_dword v33, v12, s[0:3], 0 offen offset:96
	v_mov_b32_e32 v12, 0x1420
	buffer_store_dword v1, v12, s[0:3], 0 offen offset:100
	v_mov_b32_e32 v12, 0x1420
	v_add_u32_e32 v8, v8, v4
	buffer_store_dword v7, v12, s[0:3], 0 offen offset:104
	v_lshrrev_b32_e32 v12, 31, v8
	v_ashrrev_i32_e32 v8, 4, v8
	v_add_u32_e32 v8, v8, v12
	v_mul_lo_u32 v8, v8, 30
	v_mov_b32_e32 v12, 0x1420
	buffer_store_dword v9, v12, s[0:3], 0 offen offset:108
	v_mov_b32_e32 v12, 0x1420
	v_sub_u32_e32 v4, v4, v8
	buffer_store_dword v10, v12, s[0:3], 0 offen offset:112
	v_mov_b32_e32 v12, 0x1420
	v_cmp_lt_i32_e32 vcc, 0, v4
	buffer_store_dword v11, v12, s[0:3], 0 offen offset:116
	s_and_saveexec_b64 s[12:13], vcc
	s_cbranch_execz .LBB1_70
; %bb.68:                               ;   in Loop: Header=BB1_65 Depth=1
	v_sub_u32_e32 v8, 0, v4
	v_max_i32_e32 v8, v4, v8
	v_cvt_f32_u32_e32 v12, v8
	v_sub_u32_e32 v13, 0, v8
	s_mov_b64 s[14:15], 0
	v_rcp_iflag_f32_e32 v12, v12
	v_mul_f32_e32 v12, 0x4f7ffffe, v12
	v_cvt_u32_f32_e32 v12, v12
	v_mul_lo_u32 v13, v13, v12
	v_mul_hi_u32 v13, v12, v13
	v_add_u32_e32 v12, v12, v13
	v_mov_b32_e32 v13, v2
.LBB1_69:                               ;   Parent Loop BB1_65 Depth=1
                                        ; =>  This Inner Loop Header: Depth=2
	v_mul_hi_i32 v14, v13, s28
	v_sub_u32_e32 v35, 0, v3
	v_max_i32_e32 v35, v3, v35
	v_mul_hi_u32 v36, v35, v12
	v_add_u32_e32 v14, v14, v13
	v_lshrrev_b32_e32 v34, 31, v14
	v_ashrrev_i32_e32 v14, 4, v14
	v_add_u32_e32 v14, v14, v34
	v_mul_lo_u32 v14, v14, 30
	v_mov_b32_e32 v34, 0x1420
	v_mul_lo_u32 v36, v36, v8
	v_add_u32_e32 v4, -1, v4
	v_sub_u32_e32 v14, v13, v14
	v_lshl_add_u32 v14, v14, 2, v34
	buffer_load_dword v14, v14, s[0:3], 0 offen
	v_sub_u32_e32 v35, v35, v36
	v_sub_u32_e32 v36, v35, v8
	v_cmp_ge_u32_e32 vcc, v35, v8
	v_cndmask_b32_e32 v35, v35, v36, vcc
	v_sub_u32_e32 v36, v35, v8
	v_cmp_ge_u32_e32 vcc, v35, v8
	v_ashrrev_i32_e32 v34, 31, v3
	v_cndmask_b32_e32 v35, v35, v36, vcc
	v_xor_b32_e32 v35, v35, v34
	v_sub_u32_e32 v34, v35, v34
	v_add_u32_e32 v34, v34, v2
	v_mul_hi_i32 v35, v34, s28
	v_cmp_eq_u32_e32 vcc, 0, v4
	v_add_u32_e32 v3, 1, v3
	s_or_b64 s[14:15], vcc, s[14:15]
	v_add_u32_e32 v35, v35, v34
	v_lshrrev_b32_e32 v36, 31, v35
	v_ashrrev_i32_e32 v35, 4, v35
	v_add_u32_e32 v35, v35, v36
	v_mul_lo_u32 v35, v35, 30
	v_add_u32_e32 v13, 1, v13
	v_sub_u32_e32 v34, v34, v35
	v_lshl_add_u32 v34, v34, 2, v6
	s_waitcnt vmcnt(0)
	buffer_store_dword v14, v34, s[0:3], 0 offen
	s_andn2_b64 exec, exec, s[14:15]
	s_cbranch_execnz .LBB1_69
.LBB1_70:                               ;   in Loop: Header=BB1_65 Depth=1
	s_or_b64 exec, exec, s[12:13]
                                        ; implicit-def: $vgpr3
.LBB1_71:                               ;   in Loop: Header=BB1_65 Depth=1
	s_andn2_saveexec_b64 s[10:11], s[10:11]
	s_cbranch_execz .LBB1_82
; %bb.72:                               ;   in Loop: Header=BB1_65 Depth=1
	v_mad_u64_u32 v[2:3], s[12:13], v3, s23, 1
	v_and_b32_e32 v38, 0x7fffffff, v2
	v_cvt_f32_u32_e32 v3, v38
	v_mul_f32_e32 v3, 0x30000000, v3
	v_fma_f32 v3, v3, 2.0, 1.0
	v_cmp_lt_f32_e32 vcc, 0, v3
	s_and_saveexec_b64 s[12:13], vcc
	s_cbranch_execz .LBB1_81
; %bb.73:                               ;   in Loop: Header=BB1_65 Depth=1
	s_mov_b32 s31, 0
	s_mov_b64 s[14:15], 0
	s_branch .LBB1_75
.LBB1_74:                               ;   in Loop: Header=BB1_75 Depth=2
	s_or_b64 exec, exec, s[16:17]
	v_mad_u64_u32 v[2:3], s[16:17], v2, s23, 1
	s_add_i32 s31, s31, 1
	v_cvt_f32_u32_e32 v4, s31
	v_and_b32_e32 v38, 0x7fffffff, v2
	v_cvt_f32_u32_e32 v3, v38
	v_mul_f32_e32 v3, 0x30000000, v3
	v_fma_f32 v3, v3, 2.0, 1.0
	v_cmp_ngt_f32_e32 vcc, v3, v4
	s_or_b64 s[14:15], vcc, s[14:15]
	s_andn2_b64 exec, exec, s[14:15]
	s_cbranch_execz .LBB1_80
.LBB1_75:                               ;   Parent Loop BB1_65 Depth=1
                                        ; =>  This Loop Header: Depth=2
                                        ;       Child Loop BB1_78 Depth 3
	v_mad_u64_u32 v[3:4], s[16:17], v2, s23, 1
	v_mul_lo_u32 v4, v2, s26
	v_mul_lo_u32 v2, v2, s27
	v_and_b32_e32 v3, 0x7fffffff, v3
	v_cvt_f32_u32_e32 v3, v3
	v_add_u32_e32 v4, 0x1984a2e, v4
	v_and_b32_e32 v4, 0x7fffffff, v4
	v_cvt_f32_u32_e32 v4, v4
	v_mul_f32_e32 v3, 0x30000000, v3
	v_mul_f32_e32 v3, 0x41f00000, v3
	v_cvt_i32_f32_e32 v3, v3
	v_mul_f32_e32 v4, 0x30000000, v4
	v_mul_f32_e32 v4, 0x41f00000, v4
	v_cvt_i32_f32_e32 v4, v4
	v_add_u32_e32 v2, 0x86865617, v2
	v_and_b32_e32 v2, 0x7fffffff, v2
	v_cvt_f32_u32_e32 v8, v2
	v_sub_u32_e32 v12, v3, v4
	v_sub_u32_e32 v13, 0, v12
	v_max_i32_e32 v12, v12, v13
	v_add_u32_e32 v12, -1, v12
	v_cvt_f32_i32_e32 v12, v12
	v_mul_f32_e32 v8, 0x30000000, v8
	v_fma_f32 v8, v8, v12, 1.0
	v_cvt_i32_f32_e32 v8, v8
	v_cmp_lt_i32_e32 vcc, 0, v8
	s_and_saveexec_b64 s[16:17], vcc
	s_cbranch_execz .LBB1_74
; %bb.76:                               ;   in Loop: Header=BB1_75 Depth=2
	s_mov_b64 s[18:19], 0
	s_branch .LBB1_78
.LBB1_77:                               ;   in Loop: Header=BB1_78 Depth=3
	s_or_b64 exec, exec, s[20:21]
	v_add_u32_e32 v8, -1, v8
	v_cmp_eq_u32_e32 vcc, 0, v8
	v_add_u32_e32 v4, 1, v4
	s_or_b64 s[18:19], vcc, s[18:19]
	v_add_u32_e32 v3, 1, v3
	s_andn2_b64 exec, exec, s[18:19]
	s_cbranch_execz .LBB1_74
.LBB1_78:                               ;   Parent Loop BB1_65 Depth=1
                                        ;     Parent Loop BB1_75 Depth=2
                                        ; =>    This Inner Loop Header: Depth=3
	v_mul_hi_i32 v12, v3, s28
	v_mul_hi_i32 v13, v4, s28
	v_add_u32_e32 v12, v12, v3
	v_add_u32_e32 v13, v13, v4
	v_lshrrev_b32_e32 v14, 31, v12
	v_ashrrev_i32_e32 v12, 4, v12
	v_add_u32_e32 v12, v12, v14
	v_lshrrev_b32_e32 v14, 31, v13
	v_ashrrev_i32_e32 v13, 4, v13
	v_add_u32_e32 v13, v13, v14
	v_mul_lo_u32 v12, v12, 30
	v_mul_lo_u32 v13, v13, 30
	v_sub_u32_e32 v12, v3, v12
	v_sub_u32_e32 v13, v4, v13
	v_cmp_ne_u32_e32 vcc, v12, v13
	s_and_saveexec_b64 s[20:21], vcc
	s_cbranch_execz .LBB1_77
; %bb.79:                               ;   in Loop: Header=BB1_78 Depth=3
	v_lshl_add_u32 v13, v13, 2, v6
	v_lshl_add_u32 v12, v12, 2, v6
	buffer_load_dword v14, v13, s[0:3], 0 offen
	buffer_load_dword v34, v12, s[0:3], 0 offen
	s_waitcnt vmcnt(0)
	v_sub_u32_e32 v14, v34, v14
	buffer_store_dword v14, v12, s[0:3], 0 offen
	buffer_load_dword v34, v13, s[0:3], 0 offen
	s_waitcnt vmcnt(0)
	v_add_u32_e32 v14, v34, v14
	buffer_store_dword v14, v13, s[0:3], 0 offen
	buffer_load_dword v13, v12, s[0:3], 0 offen
	s_waitcnt vmcnt(0)
	v_sub_u32_e32 v13, v14, v13
	buffer_store_dword v13, v12, s[0:3], 0 offen
	s_branch .LBB1_77
.LBB1_80:                               ;   in Loop: Header=BB1_65 Depth=1
	s_or_b64 exec, exec, s[14:15]
.LBB1_81:                               ;   in Loop: Header=BB1_65 Depth=1
	s_or_b64 exec, exec, s[12:13]
.LBB1_82:                               ;   in Loop: Header=BB1_65 Depth=1
	s_or_b64 exec, exec, s[10:11]
                                        ; implicit-def: $vgpr3
.LBB1_83:                               ;   in Loop: Header=BB1_65 Depth=1
	s_andn2_saveexec_b64 s[4:5], s[4:5]
	s_cbranch_execz .LBB1_91
; %bb.84:                               ;   in Loop: Header=BB1_65 Depth=1
	v_mad_u64_u32 v[2:3], s[10:11], v3, s23, 1
	v_and_b32_e32 v38, 0x7fffffff, v2
	v_cvt_f32_u32_e32 v3, v38
	v_mul_f32_e32 v3, 0x30000000, v3
	v_fma_f32 v3, v3, 4.0, 1.0
	v_cmp_lt_f32_e32 vcc, 0, v3
	s_and_saveexec_b64 s[10:11], vcc
	s_cbranch_execz .LBB1_90
; %bb.85:                               ;   in Loop: Header=BB1_65 Depth=1
	s_mov_b32 s16, 1
	s_mov_b64 s[12:13], 0
	s_branch .LBB1_87
.LBB1_86:                               ;   in Loop: Header=BB1_87 Depth=2
	s_or_b64 exec, exec, s[14:15]
	v_mad_u64_u32 v[2:3], s[14:15], v2, s23, 1
	v_cvt_f32_u32_e32 v4, s16
	s_add_i32 s16, s16, 1
	v_and_b32_e32 v38, 0x7fffffff, v2
	v_cvt_f32_u32_e32 v3, v38
	v_mul_f32_e32 v3, 0x30000000, v3
	v_fma_f32 v3, v3, 4.0, 1.0
	v_cmp_ngt_f32_e32 vcc, v3, v4
	s_or_b64 s[12:13], vcc, s[12:13]
	s_andn2_b64 exec, exec, s[12:13]
	s_cbranch_execz .LBB1_89
.LBB1_87:                               ;   Parent Loop BB1_65 Depth=1
                                        ; =>  This Inner Loop Header: Depth=2
	v_mad_u64_u32 v[3:4], s[14:15], v2, s23, 1
	v_mul_lo_u32 v2, v2, s26
	v_and_b32_e32 v3, 0x7fffffff, v3
	v_cvt_f32_u32_e32 v3, v3
	v_add_u32_e32 v2, 0x1984a2e, v2
	v_and_b32_e32 v2, 0x7fffffff, v2
	v_cvt_f32_u32_e32 v4, v2
	v_mul_f32_e32 v3, 0x30000000, v3
	v_mul_f32_e32 v3, 0x41f00000, v3
	v_cvt_i32_f32_e32 v3, v3
	v_mul_f32_e32 v4, 0x30000000, v4
	v_mul_f32_e32 v4, 0x41f00000, v4
	v_cvt_i32_f32_e32 v4, v4
	v_cmp_ne_u32_e32 vcc, v3, v4
	s_and_saveexec_b64 s[14:15], vcc
	s_cbranch_execz .LBB1_86
; %bb.88:                               ;   in Loop: Header=BB1_87 Depth=2
	v_lshl_add_u32 v4, v4, 2, v6
	v_lshl_add_u32 v3, v3, 2, v6
	buffer_load_dword v8, v4, s[0:3], 0 offen
	buffer_load_dword v12, v3, s[0:3], 0 offen
	s_waitcnt vmcnt(0)
	v_sub_u32_e32 v8, v12, v8
	buffer_store_dword v8, v3, s[0:3], 0 offen
	buffer_load_dword v12, v4, s[0:3], 0 offen
	s_waitcnt vmcnt(0)
	v_add_u32_e32 v8, v12, v8
	buffer_store_dword v8, v4, s[0:3], 0 offen
	buffer_load_dword v4, v3, s[0:3], 0 offen
	s_waitcnt vmcnt(0)
	v_sub_u32_e32 v4, v8, v4
	buffer_store_dword v4, v3, s[0:3], 0 offen
	s_branch .LBB1_86
.LBB1_89:                               ;   in Loop: Header=BB1_65 Depth=1
	s_or_b64 exec, exec, s[12:13]
.LBB1_90:                               ;   in Loop: Header=BB1_65 Depth=1
	s_or_b64 exec, exec, s[10:11]
.LBB1_91:                               ;   in Loop: Header=BB1_65 Depth=1
	s_or_b64 exec, exec, s[4:5]
	buffer_load_dword v39, off, s[0:3], 0 offset:1824
	buffer_load_dword v40, off, s[0:3], 0 offset:1828
	;; [unrolled: 1-line block ×30, first 2 shown]
	s_mov_b32 s12, 0
	buffer_store_dword v0, off, s[0:3], 0 offset:1696
	buffer_store_dword v0, off, s[0:3], 0 offset:1700
	;; [unrolled: 1-line block ×30, first 2 shown]
	s_branch .LBB1_93
.LBB1_92:                               ;   in Loop: Header=BB1_93 Depth=2
	s_or_b64 exec, exec, s[4:5]
	s_add_i32 s12, s12, 1
	s_cmp_lg_u32 s12, 30
	s_cbranch_scc0 .LBB1_96
.LBB1_93:                               ;   Parent Loop BB1_65 Depth=1
                                        ; =>  This Loop Header: Depth=2
                                        ;       Child Loop BB1_95 Depth 3
	s_lshl_b32 s10, s12, 2
	v_mov_b32_e32 v3, 0x6a0
	v_add_u32_e32 v2, s10, v3
	buffer_load_dword v12, v2, s[0:3], 0 offen
	s_waitcnt vmcnt(0)
	v_cmp_lt_i32_e32 vcc, 0, v12
	s_and_saveexec_b64 s[4:5], vcc
	s_cbranch_execz .LBB1_92
; %bb.94:                               ;   in Loop: Header=BB1_93 Depth=2
	v_mov_b32_e32 v3, 0x720
	v_add_u32_e32 v2, s10, v3
	buffer_load_dword v2, v2, s[0:3], 0 offen
	s_waitcnt vmcnt(0)
	v_cmp_lt_i32_e32 vcc, v39, v2
	v_cndmask_b32_e64 v3, 0, 14, vcc
	v_cmp_lt_i32_e32 vcc, v40, v2
	v_add_u32_e32 v4, 14, v3
	v_cndmask_b32_e32 v3, v3, v4, vcc
	v_cmp_lt_i32_e32 vcc, v41, v2
	v_add_u32_e32 v4, 14, v3
	v_cndmask_b32_e32 v3, v3, v4, vcc
	v_cmp_lt_i32_e32 vcc, v42, v2
	v_add_u32_e32 v4, 14, v3
	v_cndmask_b32_e32 v3, v3, v4, vcc
	v_cmp_lt_i32_e32 vcc, v43, v2
	v_add_u32_e32 v4, 14, v3
	v_cndmask_b32_e32 v3, v3, v4, vcc
	v_cmp_lt_i32_e32 vcc, v44, v2
	v_add_u32_e32 v4, 14, v3
	v_cndmask_b32_e32 v3, v3, v4, vcc
	v_cmp_lt_i32_e32 vcc, v45, v2
	v_add_u32_e32 v4, 14, v3
	v_cndmask_b32_e32 v3, v3, v4, vcc
	v_cmp_lt_i32_e32 vcc, v46, v2
	v_add_u32_e32 v4, 13, v3
	v_cndmask_b32_e32 v3, v3, v4, vcc
	v_cmp_lt_i32_e32 vcc, v47, v2
	v_add_u32_e32 v4, 13, v3
	v_cndmask_b32_e32 v3, v3, v4, vcc
	v_cmp_lt_i32_e32 vcc, v48, v2
	v_add_u32_e32 v4, 13, v3
	v_cndmask_b32_e32 v3, v3, v4, vcc
	v_cmp_lt_i32_e32 vcc, v49, v2
	v_add_u32_e32 v4, 13, v3
	v_cndmask_b32_e32 v3, v3, v4, vcc
	v_cmp_lt_i32_e32 vcc, v50, v2
	v_add_u32_e32 v4, 13, v3
	v_cndmask_b32_e32 v3, v3, v4, vcc
	v_cmp_lt_i32_e32 vcc, v51, v2
	v_add_u32_e32 v4, 13, v3
	v_cndmask_b32_e32 v3, v3, v4, vcc
	v_cmp_lt_i32_e32 vcc, v52, v2
	v_add_u32_e32 v4, 13, v3
	v_cndmask_b32_e32 v3, v3, v4, vcc
	v_cmp_lt_i32_e32 vcc, v53, v2
	v_add_u32_e32 v4, 13, v3
	v_cndmask_b32_e32 v3, v3, v4, vcc
	v_cmp_lt_i32_e32 vcc, v54, v2
	v_add_u32_e32 v4, 13, v3
	v_cndmask_b32_e32 v3, v3, v4, vcc
	v_cmp_lt_i32_e32 vcc, v55, v2
	v_add_u32_e32 v4, 13, v3
	v_cndmask_b32_e32 v3, v3, v4, vcc
	v_cmp_lt_i32_e32 vcc, v56, v2
	v_add_u32_e32 v4, 13, v3
	v_cndmask_b32_e32 v3, v3, v4, vcc
	v_cmp_lt_i32_e32 vcc, v57, v2
	v_add_u32_e32 v4, 13, v3
	v_cndmask_b32_e32 v3, v3, v4, vcc
	v_cmp_lt_i32_e32 vcc, v58, v2
	v_add_u32_e32 v4, 13, v3
	v_cndmask_b32_e32 v3, v3, v4, vcc
	v_cmp_lt_i32_e32 vcc, v59, v2
	v_add_u32_e32 v4, 13, v3
	v_cndmask_b32_e32 v3, v3, v4, vcc
	v_cmp_lt_i32_e32 vcc, v60, v2
	v_add_u32_e32 v4, 13, v3
	v_cndmask_b32_e32 v3, v3, v4, vcc
	v_cmp_lt_i32_e32 vcc, v61, v2
	v_add_u32_e32 v4, 13, v3
	v_cndmask_b32_e32 v3, v3, v4, vcc
	v_cmp_lt_i32_e32 vcc, v62, v2
	v_add_u32_e32 v4, 13, v3
	v_cndmask_b32_e32 v3, v3, v4, vcc
	v_cmp_lt_i32_e32 vcc, v63, v2
	v_add_u32_e32 v4, 13, v3
	v_cndmask_b32_e32 v3, v3, v4, vcc
	v_cmp_lt_i32_e32 vcc, v34, v2
	v_add_u32_e32 v4, 13, v3
	v_cndmask_b32_e32 v3, v3, v4, vcc
	v_cmp_lt_i32_e32 vcc, v35, v2
	v_add_u32_e32 v4, 13, v3
	v_cndmask_b32_e32 v3, v3, v4, vcc
	v_cmp_lt_i32_e32 vcc, v36, v2
	v_add_u32_e32 v4, 13, v3
	v_cndmask_b32_e32 v3, v3, v4, vcc
	v_cmp_lt_i32_e32 vcc, v37, v2
	v_add_u32_e32 v4, 13, v3
	v_cndmask_b32_e32 v3, v3, v4, vcc
	v_cmp_lt_i32_e32 vcc, v8, v2
	v_add_u32_e32 v4, 13, v3
	v_cndmask_b32_e32 v13, v3, v4, vcc
	v_mov_b32_e32 v3, 16
	v_mad_u64_u32 v[2:3], s[10:11], v2, 56, v[3:4]
	v_ashrrev_i32_e32 v14, 31, v13
	v_lshlrev_b64 v[3:4], 2, v[13:14]
	s_waitcnt lgkmcnt(0)
	v_mov_b32_e32 v13, s9
	v_add_co_u32_e32 v3, vcc, s8, v3
	v_addc_co_u32_e32 v4, vcc, v13, v4, vcc
	s_mov_b64 s[10:11], 0
.LBB1_95:                               ;   Parent Loop BB1_65 Depth=1
                                        ;     Parent Loop BB1_93 Depth=2
                                        ; =>    This Inner Loop Header: Depth=3
	global_load_dword v13, v[3:4], off
	v_add_co_u32_e32 v3, vcc, 4, v3
	v_add_u32_e32 v12, -1, v12
	v_addc_co_u32_e32 v4, vcc, 0, v4, vcc
	v_cmp_eq_u32_e32 vcc, 0, v12
	s_or_b64 s[10:11], vcc, s[10:11]
	s_waitcnt vmcnt(0)
	buffer_store_dword v13, v2, s[0:3], 0 offen
	v_add_u32_e32 v2, 4, v2
	s_andn2_b64 exec, exec, s[10:11]
	s_cbranch_execnz .LBB1_95
	s_branch .LBB1_92
.LBB1_96:                               ;   in Loop: Header=BB1_65 Depth=1
	s_movk_i32 s10, 0x7a0
	s_mov_b32 s11, 7
	s_branch .LBB1_98
.LBB1_97:                               ;   in Loop: Header=BB1_98 Depth=2
	s_andn2_b64 vcc, exec, s[4:5]
	s_cbranch_vccz .LBB1_100
.LBB1_98:                               ;   Parent Loop BB1_65 Depth=1
                                        ; =>  This Inner Loop Header: Depth=2
	s_add_i32 s4, s11, -7
	s_and_b32 s5, s4, 0xffff
	s_mul_i32 s5, s5, 0x8889
	s_lshr_b32 s5, s5, 20
	s_mul_i32 s12, s5, 30
	s_sub_i32 s4, s4, s12
	s_and_b32 s4, s4, 0xffff
	s_lshl_b32 s4, s4, 2
	v_mov_b32_e32 v3, 0x720
	v_add_u32_e32 v2, s4, v3
	buffer_load_dword v3, v2, s[0:3], 0 offen
	s_lshl_b32 s4, s5, 2
	v_add_u32_e64 v2, s4, 16
	v_mov_b32_e32 v4, s10
	v_mov_b32_e32 v12, 0x720
	s_waitcnt vmcnt(0)
	v_mad_u64_u32 v[2:3], s[4:5], v3, 56, v[2:3]
	s_add_i32 s4, s11, -6
	s_and_b32 s5, s4, 0xffff
	buffer_load_dword v2, v2, s[0:3], 0 offen
	s_mul_i32 s5, s5, 0x8889
	s_lshr_b32 s5, s5, 20
	s_mul_i32 s12, s5, 30
	s_sub_i32 s4, s4, s12
	s_and_b32 s4, s4, 0xffff
	s_lshl_b32 s4, s4, 2
	v_add_u32_e32 v3, s4, v12
	s_lshl_b32 s4, s5, 2
	v_mov_b32_e32 v12, 0x720
	s_waitcnt vmcnt(0)
	buffer_store_dword v2, v4, s[0:3], 0 offen
	buffer_load_dword v3, v3, s[0:3], 0 offen
	v_add_u32_e64 v2, s4, 16
	s_waitcnt vmcnt(0)
	v_mad_u64_u32 v[2:3], s[4:5], v3, 56, v[2:3]
	s_add_i32 s4, s11, -5
	s_and_b32 s5, s4, 0xffff
	buffer_load_dword v2, v2, s[0:3], 0 offen
	s_mul_i32 s5, s5, 0x8889
	s_lshr_b32 s5, s5, 20
	s_mul_i32 s12, s5, 30
	s_sub_i32 s4, s4, s12
	s_and_b32 s4, s4, 0xffff
	s_lshl_b32 s4, s4, 2
	v_add_u32_e32 v3, s4, v12
	s_lshl_b32 s4, s5, 2
	v_mov_b32_e32 v12, 0x720
	s_waitcnt vmcnt(0)
	buffer_store_dword v2, v4, s[0:3], 0 offen offset:4
	buffer_load_dword v3, v3, s[0:3], 0 offen
	v_add_u32_e64 v2, s4, 16
	s_waitcnt vmcnt(0)
	v_mad_u64_u32 v[2:3], s[4:5], v3, 56, v[2:3]
	s_add_i32 s4, s11, -4
	s_and_b32 s5, s4, 0xffff
	buffer_load_dword v2, v2, s[0:3], 0 offen
	s_mul_i32 s5, s5, 0x8889
	s_lshr_b32 s5, s5, 20
	s_mul_i32 s12, s5, 30
	s_sub_i32 s4, s4, s12
	s_and_b32 s4, s4, 0xffff
	s_lshl_b32 s4, s4, 2
	v_add_u32_e32 v3, s4, v12
	s_lshl_b32 s4, s5, 2
	v_mov_b32_e32 v12, 0x720
	s_waitcnt vmcnt(0)
	buffer_store_dword v2, v4, s[0:3], 0 offen offset:8
	buffer_load_dword v3, v3, s[0:3], 0 offen
	v_add_u32_e64 v2, s4, 16
	s_waitcnt vmcnt(0)
	v_mad_u64_u32 v[2:3], s[4:5], v3, 56, v[2:3]
	s_add_i32 s4, s11, -3
	s_and_b32 s5, s4, 0xffff
	buffer_load_dword v2, v2, s[0:3], 0 offen
	s_mul_i32 s5, s5, 0x8889
	s_lshr_b32 s5, s5, 20
	s_mul_i32 s12, s5, 30
	s_sub_i32 s4, s4, s12
	s_and_b32 s4, s4, 0xffff
	s_lshl_b32 s4, s4, 2
	v_add_u32_e32 v3, s4, v12
	s_lshl_b32 s4, s5, 2
	s_cmpk_eq_i32 s11, 0x18f
	s_waitcnt vmcnt(0)
	buffer_store_dword v2, v4, s[0:3], 0 offen offset:12
	buffer_load_dword v3, v3, s[0:3], 0 offen
	v_add_u32_e64 v2, s4, 16
	s_waitcnt vmcnt(0)
	v_mad_u64_u32 v[2:3], s[4:5], v3, 56, v[2:3]
	s_mov_b64 s[4:5], -1
	buffer_load_dword v2, v2, s[0:3], 0 offen
	s_waitcnt vmcnt(0)
	buffer_store_dword v2, v4, s[0:3], 0 offen offset:16
	s_cbranch_scc1 .LBB1_97
; %bb.99:                               ;   in Loop: Header=BB1_98 Depth=2
	s_add_i32 s4, s11, -2
	s_and_b32 s5, s4, 0xffff
	s_mul_i32 s5, s5, 0x8889
	s_lshr_b32 s5, s5, 20
	s_mul_i32 s12, s5, 30
	s_sub_i32 s4, s4, s12
	s_and_b32 s4, s4, 0xffff
	s_lshl_b32 s4, s4, 2
	v_mov_b32_e32 v3, 0x720
	v_add_u32_e32 v2, s4, v3
	buffer_load_dword v3, v2, s[0:3], 0 offen
	s_lshl_b32 s4, s5, 2
	v_add_u32_e64 v2, s4, 16
	v_mov_b32_e32 v4, s10
	v_mov_b32_e32 v12, 0x720
	s_add_i32 s10, s10, 32
	s_waitcnt vmcnt(0)
	v_mad_u64_u32 v[2:3], s[4:5], v3, 56, v[2:3]
	s_add_i32 s4, s11, -1
	s_and_b32 s5, s4, 0xffff
	buffer_load_dword v2, v2, s[0:3], 0 offen
	s_mul_i32 s5, s5, 0x8889
	s_lshr_b32 s5, s5, 20
	s_mul_i32 s12, s5, 30
	s_sub_i32 s4, s4, s12
	s_and_b32 s4, s4, 0xffff
	s_lshl_b32 s4, s4, 2
	v_add_u32_e32 v3, s4, v12
	s_lshl_b32 s4, s5, 2
	v_mov_b32_e32 v12, 0x720
	s_waitcnt vmcnt(0)
	buffer_store_dword v2, v4, s[0:3], 0 offen offset:20
	buffer_load_dword v3, v3, s[0:3], 0 offen
	v_add_u32_e64 v2, s4, 16
	s_waitcnt vmcnt(0)
	v_mad_u64_u32 v[2:3], s[4:5], v3, 56, v[2:3]
	s_and_b32 s4, s11, 0xffff
	s_mul_i32 s4, s4, 0x8889
	buffer_load_dword v2, v2, s[0:3], 0 offen
	s_lshr_b32 s4, s4, 20
	s_mul_i32 s5, s4, 30
	s_sub_i32 s5, s11, s5
	s_and_b32 s5, s5, 0xffff
	s_lshl_b32 s5, s5, 2
	v_add_u32_e32 v3, s5, v12
	s_lshl_b32 s4, s4, 2
	s_add_i32 s11, s11, 8
	s_waitcnt vmcnt(0)
	buffer_store_dword v2, v4, s[0:3], 0 offen offset:24
	buffer_load_dword v3, v3, s[0:3], 0 offen
	v_add_u32_e64 v2, s4, 16
	s_waitcnt vmcnt(0)
	v_mad_u64_u32 v[2:3], s[4:5], v3, 56, v[2:3]
	s_mov_b64 s[4:5], 0
	buffer_load_dword v2, v2, s[0:3], 0 offen
	s_waitcnt vmcnt(0)
	buffer_store_dword v2, v4, s[0:3], 0 offen offset:28
	s_branch .LBB1_97
.LBB1_100:                              ;   in Loop: Header=BB1_65 Depth=1
	buffer_load_dword v3, off, s[0:3], 0 offset:1952
	v_mov_b32_e32 v2, 0
	s_mov_b32 s4, 4
	s_waitcnt vmcnt(0)
	v_mov_b32_e32 v4, v3
.LBB1_101:                              ;   Parent Loop BB1_65 Depth=1
                                        ; =>  This Inner Loop Header: Depth=2
	v_mov_b32_e32 v13, 0x7a0
	v_add_u32_e32 v12, s4, v13
	v_mul_lo_u32 v13, v4, s29
	buffer_load_dword v14, v12, s[0:3], 0 offen
	buffer_load_dword v15, v12, s[0:3], 0 offen offset:4
	buffer_load_dword v16, v12, s[0:3], 0 offen offset:8
	buffer_load_dword v17, v12, s[0:3], 0 offen offset:12
	buffer_load_dword v18, v12, s[0:3], 0 offen offset:16
	buffer_load_dword v19, v12, s[0:3], 0 offen offset:20
	buffer_load_dword v20, v12, s[0:3], 0 offen offset:24
	buffer_load_dword v21, v12, s[0:3], 0 offen offset:28
	buffer_load_dword v22, v12, s[0:3], 0 offen offset:32
	buffer_load_dword v23, v12, s[0:3], 0 offen offset:36
	buffer_load_dword v24, v12, s[0:3], 0 offen offset:40
	buffer_load_dword v4, v12, s[0:3], 0 offen offset:44
	s_add_i32 s4, s4, 48
	s_cmpk_lg_i32 s4, 0x634
	s_waitcnt vmcnt(11)
	v_lshl_add_u32 v12, v14, 2, v13
	ds_read_b32 v12, v12
	s_waitcnt lgkmcnt(0)
	v_add_f32_e32 v2, v2, v12
	v_mul_lo_u32 v12, v14, s29
	s_waitcnt vmcnt(10)
	v_lshl_add_u32 v12, v15, 2, v12
	ds_read_b32 v12, v12
	s_waitcnt lgkmcnt(0)
	v_add_f32_e32 v2, v2, v12
	v_mul_lo_u32 v12, v15, s29
	;; [unrolled: 6-line block ×11, first 2 shown]
	s_waitcnt vmcnt(0)
	v_lshl_add_u32 v12, v4, 2, v12
	ds_read_b32 v12, v12
	s_waitcnt lgkmcnt(0)
	v_add_f32_e32 v2, v2, v12
	s_cbranch_scc1 .LBB1_101
; %bb.102:                              ;   in Loop: Header=BB1_65 Depth=1
	v_cmp_nlt_f32_e32 vcc, v2, v32
	s_and_saveexec_b64 s[4:5], vcc
	s_xor_b64 s[4:5], exec, s[4:5]
	s_cbranch_execnz .LBB1_104
; %bb.103:                              ;   in Loop: Header=BB1_65 Depth=1
	s_andn2_saveexec_b64 s[4:5], s[4:5]
	s_cbranch_execz .LBB1_64
	s_branch .LBB1_105
.LBB1_104:                              ;   in Loop: Header=BB1_65 Depth=1
	s_mov_b32 s10, 0x52600
	buffer_load_dword v3, off, s[0:3], s10  ; 4-byte Folded Reload
	s_mov_b32 s10, 0x52700
                                        ; implicit-def: $vgpr39
                                        ; implicit-def: $vgpr40
                                        ; implicit-def: $vgpr41
                                        ; implicit-def: $vgpr42
                                        ; implicit-def: $vgpr43
                                        ; implicit-def: $vgpr44
                                        ; implicit-def: $vgpr45
                                        ; implicit-def: $vgpr46
                                        ; implicit-def: $vgpr47
                                        ; implicit-def: $vgpr48
                                        ; implicit-def: $vgpr49
                                        ; implicit-def: $vgpr50
                                        ; implicit-def: $vgpr51
                                        ; implicit-def: $vgpr52
                                        ; implicit-def: $vgpr53
                                        ; implicit-def: $vgpr54
                                        ; implicit-def: $vgpr55
                                        ; implicit-def: $vgpr56
                                        ; implicit-def: $vgpr57
                                        ; implicit-def: $vgpr58
                                        ; implicit-def: $vgpr59
                                        ; implicit-def: $vgpr60
                                        ; implicit-def: $vgpr61
                                        ; implicit-def: $vgpr62
                                        ; implicit-def: $vgpr63
                                        ; implicit-def: $vgpr34
                                        ; implicit-def: $vgpr35
                                        ; implicit-def: $vgpr36
                                        ; implicit-def: $vgpr37
                                        ; implicit-def: $vgpr8
	s_waitcnt vmcnt(0)
	buffer_store_dword v3, off, s[0:3], 0 offset:1824
	buffer_load_dword v3, off, s[0:3], s10  ; 4-byte Folded Reload
	s_mov_b32 s10, 0x52800
	s_waitcnt vmcnt(0)
	buffer_store_dword v3, off, s[0:3], 0 offset:1828
	buffer_load_dword v3, off, s[0:3], s10  ; 4-byte Folded Reload
	s_mov_b32 s10, 0x52900
	;; [unrolled: 4-line block ×15, first 2 shown]
	s_waitcnt vmcnt(0)
	buffer_store_dword v3, off, s[0:3], 0 offset:1884
	buffer_load_dword v3, off, s[0:3], s10  ; 4-byte Folded Reload
	s_waitcnt vmcnt(0)
	buffer_store_dword v3, off, s[0:3], 0 offset:1888
	buffer_store_dword v25, off, s[0:3], 0 offset:1892
	;; [unrolled: 1-line block ×14, first 2 shown]
                                        ; implicit-def: $vgpr3
	s_andn2_saveexec_b64 s[4:5], s[4:5]
	s_cbranch_execz .LBB1_64
.LBB1_105:                              ;   in Loop: Header=BB1_65 Depth=1
	v_mov_b32_e32 v1, 0
	s_branch .LBB1_107
.LBB1_106:                              ;   in Loop: Header=BB1_107 Depth=2
	s_andn2_b64 vcc, exec, s[10:11]
	s_cbranch_vccz .LBB1_63
.LBB1_107:                              ;   Parent Loop BB1_65 Depth=1
                                        ; =>  This Inner Loop Header: Depth=2
	v_add_u32_e32 v7, 0x7a0, v1
	buffer_load_dword v9, v7, s[0:3], 0 offen offset:4
	buffer_load_dword v10, v7, s[0:3], 0 offen offset:8
	;; [unrolled: 1-line block ×4, first 2 shown]
	v_cmp_eq_u32_e32 vcc, s30, v1
	v_add_u32_e32 v4, 0xde0, v1
	s_and_b64 vcc, exec, vcc
	s_mov_b64 s[10:11], -1
	s_waitcnt vmcnt(7)
	buffer_store_dword v3, v4, s[0:3], 0 offen
                                        ; implicit-def: $vgpr3
	s_waitcnt vmcnt(4)
	buffer_store_dword v9, v4, s[0:3], 0 offen offset:4
	s_waitcnt vmcnt(4)
	buffer_store_dword v10, v4, s[0:3], 0 offen offset:8
	;; [unrolled: 2-line block ×4, first 2 shown]
	s_cbranch_vccnz .LBB1_106
; %bb.108:                              ;   in Loop: Header=BB1_107 Depth=2
	buffer_load_dword v9, v7, s[0:3], 0 offen offset:20
	buffer_load_dword v10, v7, s[0:3], 0 offen offset:24
	;; [unrolled: 1-line block ×4, first 2 shown]
	v_add_u32_e32 v1, 32, v1
	s_mov_b64 s[10:11], 0
	s_waitcnt vmcnt(3)
	buffer_store_dword v9, v4, s[0:3], 0 offen offset:20
	s_waitcnt vmcnt(3)
	buffer_store_dword v10, v4, s[0:3], 0 offen offset:24
	;; [unrolled: 2-line block ×3, first 2 shown]
	s_branch .LBB1_106
.LBB1_109:
	s_mov_b32 s5, 0x53700
	buffer_load_dword v0, off, s[0:3], s5   ; 4-byte Folded Reload
	buffer_load_dword v1, off, s[0:3], s5 offset:4 ; 4-byte Folded Reload
	s_movk_i32 s4, 0x18d
	s_waitcnt vmcnt(22)
	v_mov_b32_e32 v3, s7
	s_movk_i32 s8, 0xde0
	s_waitcnt vmcnt(1)
	v_mul_lo_u32 v0, v0, s4
	s_mov_b64 s[4:5], 0
	s_waitcnt vmcnt(0)
	v_ashrrev_i32_e32 v1, 31, v0
	v_lshlrev_b64 v[0:1], 2, v[0:1]
	v_add_co_u32_e32 v2, vcc, s6, v0
	v_addc_co_u32_e32 v3, vcc, v3, v1, vcc
	s_branch .LBB1_111
.LBB1_110:                              ;   in Loop: Header=BB1_111 Depth=1
	s_andn2_b64 vcc, exec, s[6:7]
	s_cbranch_vccz .LBB1_113
.LBB1_111:                              ; =>This Inner Loop Header: Depth=1
	v_mov_b32_e32 v0, s8
	buffer_load_dword v4, v0, s[0:3], 0 offen
	buffer_load_dword v5, v0, s[0:3], 0 offen offset:4
	buffer_load_dword v6, v0, s[0:3], 0 offen offset:8
	;; [unrolled: 1-line block ×4, first 2 shown]
	v_mov_b32_e32 v1, s5
	v_add_co_u32_e32 v0, vcc, s4, v2
	s_cmpk_eq_i32 s4, 0x620
	v_addc_co_u32_e32 v1, vcc, v3, v1, vcc
	s_mov_b64 s[6:7], -1
	s_waitcnt vmcnt(1)
	global_store_dwordx4 v[0:1], v[4:7], off
	s_waitcnt vmcnt(1)
	global_store_dword v[0:1], v8, off offset:16
	s_cbranch_scc1 .LBB1_110
; %bb.112:                              ;   in Loop: Header=BB1_111 Depth=1
	v_mov_b32_e32 v7, s8
	buffer_load_dword v4, v7, s[0:3], 0 offen offset:20
	buffer_load_dword v5, v7, s[0:3], 0 offen offset:24
	buffer_load_dword v6, v7, s[0:3], 0 offen offset:28
	s_add_u32 s4, s4, 32
	s_addc_u32 s5, s5, 0
	s_add_i32 s8, s8, 32
	s_mov_b64 s[6:7], 0
	s_waitcnt vmcnt(0)
	global_store_dwordx3 v[0:1], v[4:6], off offset:20
	s_branch .LBB1_110
.LBB1_113:
	s_endpgm
	.section	.rodata,"a",@progbits
	.p2align	6, 0x0
	.amdhsa_kernel _Z6decodePKfPKiPKjPi
		.amdhsa_group_segment_fixed_size 2704
		.amdhsa_private_segment_fixed_size 5360
		.amdhsa_kernarg_size 288
		.amdhsa_user_sgpr_count 6
		.amdhsa_user_sgpr_private_segment_buffer 1
		.amdhsa_user_sgpr_dispatch_ptr 0
		.amdhsa_user_sgpr_queue_ptr 0
		.amdhsa_user_sgpr_kernarg_segment_ptr 1
		.amdhsa_user_sgpr_dispatch_id 0
		.amdhsa_user_sgpr_flat_scratch_init 0
		.amdhsa_user_sgpr_private_segment_size 0
		.amdhsa_uses_dynamic_stack 0
		.amdhsa_system_sgpr_private_segment_wavefront_offset 1
		.amdhsa_system_sgpr_workgroup_id_x 1
		.amdhsa_system_sgpr_workgroup_id_y 0
		.amdhsa_system_sgpr_workgroup_id_z 0
		.amdhsa_system_sgpr_workgroup_info 0
		.amdhsa_system_vgpr_workitem_id 0
		.amdhsa_next_free_vgpr 64
		.amdhsa_next_free_sgpr 61
		.amdhsa_reserve_vcc 1
		.amdhsa_reserve_flat_scratch 0
		.amdhsa_float_round_mode_32 0
		.amdhsa_float_round_mode_16_64 0
		.amdhsa_float_denorm_mode_32 3
		.amdhsa_float_denorm_mode_16_64 3
		.amdhsa_dx10_clamp 1
		.amdhsa_ieee_mode 1
		.amdhsa_fp16_overflow 0
		.amdhsa_exception_fp_ieee_invalid_op 0
		.amdhsa_exception_fp_denorm_src 0
		.amdhsa_exception_fp_ieee_div_zero 0
		.amdhsa_exception_fp_ieee_overflow 0
		.amdhsa_exception_fp_ieee_underflow 0
		.amdhsa_exception_fp_ieee_inexact 0
		.amdhsa_exception_int_div_zero 0
	.end_amdhsa_kernel
	.text
.Lfunc_end1:
	.size	_Z6decodePKfPKiPKjPi, .Lfunc_end1-_Z6decodePKfPKiPKjPi
                                        ; -- End function
	.set _Z6decodePKfPKiPKjPi.num_vgpr, 64
	.set _Z6decodePKfPKiPKjPi.num_agpr, 0
	.set _Z6decodePKfPKiPKjPi.numbered_sgpr, 52
	.set _Z6decodePKfPKiPKjPi.num_named_barrier, 0
	.set _Z6decodePKfPKiPKjPi.private_seg_size, 5360
	.set _Z6decodePKfPKiPKjPi.uses_vcc, 1
	.set _Z6decodePKfPKiPKjPi.uses_flat_scratch, 0
	.set _Z6decodePKfPKiPKjPi.has_dyn_sized_stack, 0
	.set _Z6decodePKfPKiPKjPi.has_recursion, 0
	.set _Z6decodePKfPKiPKjPi.has_indirect_call, 0
	.section	.AMDGPU.csdata,"",@progbits
; Kernel info:
; codeLenInByte = 16472
; TotalNumSgprs: 56
; NumVgprs: 64
; ScratchSize: 5360
; MemoryBound: 0
; FloatMode: 240
; IeeeMode: 1
; LDSByteSize: 2704 bytes/workgroup (compile time only)
; SGPRBlocks: 8
; VGPRBlocks: 15
; NumSGPRsForWavesPerEU: 65
; NumVGPRsForWavesPerEU: 64
; Occupancy: 4
; WaveLimiterHint : 0
; COMPUTE_PGM_RSRC2:SCRATCH_EN: 1
; COMPUTE_PGM_RSRC2:USER_SGPR: 6
; COMPUTE_PGM_RSRC2:TRAP_HANDLER: 0
; COMPUTE_PGM_RSRC2:TGID_X_EN: 1
; COMPUTE_PGM_RSRC2:TGID_Y_EN: 0
; COMPUTE_PGM_RSRC2:TGID_Z_EN: 0
; COMPUTE_PGM_RSRC2:TIDIG_COMP_CNT: 0
	.section	.AMDGPU.gpr_maximums,"",@progbits
	.set amdgpu.max_num_vgpr, 0
	.set amdgpu.max_num_agpr, 0
	.set amdgpu.max_num_sgpr, 0
	.section	.AMDGPU.csdata,"",@progbits
	.type	__hip_cuid_de537843eb61be6b,@object ; @__hip_cuid_de537843eb61be6b
	.section	.bss,"aw",@nobits
	.globl	__hip_cuid_de537843eb61be6b
__hip_cuid_de537843eb61be6b:
	.byte	0                               ; 0x0
	.size	__hip_cuid_de537843eb61be6b, 1

	.ident	"AMD clang version 22.0.0git (https://github.com/RadeonOpenCompute/llvm-project roc-7.2.4 26084 f58b06dce1f9c15707c5f808fd002e18c2accf7e)"
	.section	".note.GNU-stack","",@progbits
	.addrsig
	.addrsig_sym __hip_cuid_de537843eb61be6b
	.amdgpu_metadata
---
amdhsa.kernels:
  - .args:
      - .address_space:  global
        .offset:         0
        .size:           8
        .value_kind:     global_buffer
      - .offset:         8
        .size:           4
        .value_kind:     hidden_block_count_x
      - .offset:         12
        .size:           4
        .value_kind:     hidden_block_count_y
      - .offset:         16
        .size:           4
        .value_kind:     hidden_block_count_z
      - .offset:         20
        .size:           2
        .value_kind:     hidden_group_size_x
      - .offset:         22
        .size:           2
        .value_kind:     hidden_group_size_y
      - .offset:         24
        .size:           2
        .value_kind:     hidden_group_size_z
      - .offset:         26
        .size:           2
        .value_kind:     hidden_remainder_x
      - .offset:         28
        .size:           2
        .value_kind:     hidden_remainder_y
      - .offset:         30
        .size:           2
        .value_kind:     hidden_remainder_z
      - .offset:         48
        .size:           8
        .value_kind:     hidden_global_offset_x
      - .offset:         56
        .size:           8
        .value_kind:     hidden_global_offset_y
      - .offset:         64
        .size:           8
        .value_kind:     hidden_global_offset_z
      - .offset:         72
        .size:           2
        .value_kind:     hidden_grid_dims
    .group_segment_fixed_size: 0
    .kernarg_segment_align: 8
    .kernarg_segment_size: 264
    .language:       OpenCL C
    .language_version:
      - 2
      - 0
    .max_flat_workgroup_size: 1024
    .name:           _Z11setupKernelPj
    .private_segment_fixed_size: 0
    .sgpr_count:     11
    .sgpr_spill_count: 0
    .symbol:         _Z11setupKernelPj.kd
    .uniform_work_group_size: 1
    .uses_dynamic_stack: false
    .vgpr_count:     5
    .vgpr_spill_count: 0
    .wavefront_size: 64
  - .args:
      - .actual_access:  read_only
        .address_space:  global
        .offset:         0
        .size:           8
        .value_kind:     global_buffer
      - .actual_access:  read_only
        .address_space:  global
        .offset:         8
        .size:           8
        .value_kind:     global_buffer
      - .actual_access:  read_only
        .address_space:  global
        .offset:         16
        .size:           8
        .value_kind:     global_buffer
      - .actual_access:  write_only
        .address_space:  global
        .offset:         24
        .size:           8
        .value_kind:     global_buffer
      - .offset:         32
        .size:           4
        .value_kind:     hidden_block_count_x
      - .offset:         36
        .size:           4
        .value_kind:     hidden_block_count_y
      - .offset:         40
        .size:           4
        .value_kind:     hidden_block_count_z
      - .offset:         44
        .size:           2
        .value_kind:     hidden_group_size_x
      - .offset:         46
        .size:           2
        .value_kind:     hidden_group_size_y
      - .offset:         48
        .size:           2
        .value_kind:     hidden_group_size_z
      - .offset:         50
        .size:           2
        .value_kind:     hidden_remainder_x
      - .offset:         52
        .size:           2
        .value_kind:     hidden_remainder_y
      - .offset:         54
        .size:           2
        .value_kind:     hidden_remainder_z
      - .offset:         72
        .size:           8
        .value_kind:     hidden_global_offset_x
      - .offset:         80
        .size:           8
        .value_kind:     hidden_global_offset_y
      - .offset:         88
        .size:           8
        .value_kind:     hidden_global_offset_z
      - .offset:         96
        .size:           2
        .value_kind:     hidden_grid_dims
    .group_segment_fixed_size: 2704
    .kernarg_segment_align: 8
    .kernarg_segment_size: 288
    .language:       OpenCL C
    .language_version:
      - 2
      - 0
    .max_flat_workgroup_size: 1024
    .name:           _Z6decodePKfPKiPKjPi
    .private_segment_fixed_size: 5360
    .sgpr_count:     56
    .sgpr_spill_count: 0
    .symbol:         _Z6decodePKfPKiPKjPi.kd
    .uniform_work_group_size: 1
    .uses_dynamic_stack: false
    .vgpr_count:     64
    .vgpr_spill_count: 36
    .wavefront_size: 64
amdhsa.target:   amdgcn-amd-amdhsa--gfx906
amdhsa.version:
  - 1
  - 2
...

	.end_amdgpu_metadata
